;; amdgpu-corpus repo=ROCm/rocFFT kind=compiled arch=gfx906 opt=O3
	.text
	.amdgcn_target "amdgcn-amd-amdhsa--gfx906"
	.amdhsa_code_object_version 6
	.protected	fft_rtc_back_len1300_factors_10_10_13_wgs_130_tpt_130_half_ip_CI_unitstride_sbrr_R2C_dirReg ; -- Begin function fft_rtc_back_len1300_factors_10_10_13_wgs_130_tpt_130_half_ip_CI_unitstride_sbrr_R2C_dirReg
	.globl	fft_rtc_back_len1300_factors_10_10_13_wgs_130_tpt_130_half_ip_CI_unitstride_sbrr_R2C_dirReg
	.p2align	8
	.type	fft_rtc_back_len1300_factors_10_10_13_wgs_130_tpt_130_half_ip_CI_unitstride_sbrr_R2C_dirReg,@function
fft_rtc_back_len1300_factors_10_10_13_wgs_130_tpt_130_half_ip_CI_unitstride_sbrr_R2C_dirReg: ; @fft_rtc_back_len1300_factors_10_10_13_wgs_130_tpt_130_half_ip_CI_unitstride_sbrr_R2C_dirReg
; %bb.0:
	s_load_dwordx2 s[2:3], s[4:5], 0x50
	s_load_dwordx4 s[8:11], s[4:5], 0x0
	s_load_dwordx2 s[12:13], s[4:5], 0x18
	v_mul_u32_u24_e32 v1, 0x1f9, v0
	v_add_u32_sdwa v5, s6, v1 dst_sel:DWORD dst_unused:UNUSED_PAD src0_sel:DWORD src1_sel:WORD_1
	v_mov_b32_e32 v3, 0
	s_waitcnt lgkmcnt(0)
	v_cmp_lt_u64_e64 s[0:1], s[10:11], 2
	v_mov_b32_e32 v1, 0
	v_mov_b32_e32 v6, v3
	s_and_b64 vcc, exec, s[0:1]
	v_mov_b32_e32 v2, 0
	s_cbranch_vccnz .LBB0_8
; %bb.1:
	s_load_dwordx2 s[0:1], s[4:5], 0x10
	s_add_u32 s6, s12, 8
	s_addc_u32 s7, s13, 0
	v_mov_b32_e32 v1, 0
	v_mov_b32_e32 v2, 0
	s_waitcnt lgkmcnt(0)
	s_add_u32 s14, s0, 8
	s_addc_u32 s15, s1, 0
	s_mov_b64 s[16:17], 1
.LBB0_2:                                ; =>This Inner Loop Header: Depth=1
	s_load_dwordx2 s[18:19], s[14:15], 0x0
                                        ; implicit-def: $vgpr7_vgpr8
	s_waitcnt lgkmcnt(0)
	v_or_b32_e32 v4, s19, v6
	v_cmp_ne_u64_e32 vcc, 0, v[3:4]
	s_and_saveexec_b64 s[0:1], vcc
	s_xor_b64 s[20:21], exec, s[0:1]
	s_cbranch_execz .LBB0_4
; %bb.3:                                ;   in Loop: Header=BB0_2 Depth=1
	v_cvt_f32_u32_e32 v4, s18
	v_cvt_f32_u32_e32 v7, s19
	s_sub_u32 s0, 0, s18
	s_subb_u32 s1, 0, s19
	v_mac_f32_e32 v4, 0x4f800000, v7
	v_rcp_f32_e32 v4, v4
	v_mul_f32_e32 v4, 0x5f7ffffc, v4
	v_mul_f32_e32 v7, 0x2f800000, v4
	v_trunc_f32_e32 v7, v7
	v_mac_f32_e32 v4, 0xcf800000, v7
	v_cvt_u32_f32_e32 v7, v7
	v_cvt_u32_f32_e32 v4, v4
	v_mul_lo_u32 v8, s0, v7
	v_mul_hi_u32 v9, s0, v4
	v_mul_lo_u32 v11, s1, v4
	v_mul_lo_u32 v10, s0, v4
	v_add_u32_e32 v8, v9, v8
	v_add_u32_e32 v8, v8, v11
	v_mul_hi_u32 v9, v4, v10
	v_mul_lo_u32 v11, v4, v8
	v_mul_hi_u32 v13, v4, v8
	v_mul_hi_u32 v12, v7, v10
	v_mul_lo_u32 v10, v7, v10
	v_mul_hi_u32 v14, v7, v8
	v_add_co_u32_e32 v9, vcc, v9, v11
	v_addc_co_u32_e32 v11, vcc, 0, v13, vcc
	v_mul_lo_u32 v8, v7, v8
	v_add_co_u32_e32 v9, vcc, v9, v10
	v_addc_co_u32_e32 v9, vcc, v11, v12, vcc
	v_addc_co_u32_e32 v10, vcc, 0, v14, vcc
	v_add_co_u32_e32 v8, vcc, v9, v8
	v_addc_co_u32_e32 v9, vcc, 0, v10, vcc
	v_add_co_u32_e32 v4, vcc, v4, v8
	v_addc_co_u32_e32 v7, vcc, v7, v9, vcc
	v_mul_lo_u32 v8, s0, v7
	v_mul_hi_u32 v9, s0, v4
	v_mul_lo_u32 v10, s1, v4
	v_mul_lo_u32 v11, s0, v4
	v_add_u32_e32 v8, v9, v8
	v_add_u32_e32 v8, v8, v10
	v_mul_lo_u32 v12, v4, v8
	v_mul_hi_u32 v13, v4, v11
	v_mul_hi_u32 v14, v4, v8
	;; [unrolled: 1-line block ×3, first 2 shown]
	v_mul_lo_u32 v11, v7, v11
	v_mul_hi_u32 v9, v7, v8
	v_add_co_u32_e32 v12, vcc, v13, v12
	v_addc_co_u32_e32 v13, vcc, 0, v14, vcc
	v_mul_lo_u32 v8, v7, v8
	v_add_co_u32_e32 v11, vcc, v12, v11
	v_addc_co_u32_e32 v10, vcc, v13, v10, vcc
	v_addc_co_u32_e32 v9, vcc, 0, v9, vcc
	v_add_co_u32_e32 v8, vcc, v10, v8
	v_addc_co_u32_e32 v9, vcc, 0, v9, vcc
	v_add_co_u32_e32 v4, vcc, v4, v8
	v_addc_co_u32_e32 v9, vcc, v7, v9, vcc
	v_mad_u64_u32 v[7:8], s[0:1], v5, v9, 0
	v_mul_hi_u32 v10, v5, v4
	v_add_co_u32_e32 v11, vcc, v10, v7
	v_addc_co_u32_e32 v12, vcc, 0, v8, vcc
	v_mad_u64_u32 v[7:8], s[0:1], v6, v4, 0
	v_mad_u64_u32 v[9:10], s[0:1], v6, v9, 0
	v_add_co_u32_e32 v4, vcc, v11, v7
	v_addc_co_u32_e32 v4, vcc, v12, v8, vcc
	v_addc_co_u32_e32 v7, vcc, 0, v10, vcc
	v_add_co_u32_e32 v4, vcc, v4, v9
	v_addc_co_u32_e32 v9, vcc, 0, v7, vcc
	v_mul_lo_u32 v10, s19, v4
	v_mul_lo_u32 v11, s18, v9
	v_mad_u64_u32 v[7:8], s[0:1], s18, v4, 0
	v_add3_u32 v8, v8, v11, v10
	v_sub_u32_e32 v10, v6, v8
	v_mov_b32_e32 v11, s19
	v_sub_co_u32_e32 v7, vcc, v5, v7
	v_subb_co_u32_e64 v10, s[0:1], v10, v11, vcc
	v_subrev_co_u32_e64 v11, s[0:1], s18, v7
	v_subbrev_co_u32_e64 v10, s[0:1], 0, v10, s[0:1]
	v_cmp_le_u32_e64 s[0:1], s19, v10
	v_cndmask_b32_e64 v12, 0, -1, s[0:1]
	v_cmp_le_u32_e64 s[0:1], s18, v11
	v_cndmask_b32_e64 v11, 0, -1, s[0:1]
	v_cmp_eq_u32_e64 s[0:1], s19, v10
	v_cndmask_b32_e64 v10, v12, v11, s[0:1]
	v_add_co_u32_e64 v11, s[0:1], 2, v4
	v_addc_co_u32_e64 v12, s[0:1], 0, v9, s[0:1]
	v_add_co_u32_e64 v13, s[0:1], 1, v4
	v_addc_co_u32_e64 v14, s[0:1], 0, v9, s[0:1]
	v_subb_co_u32_e32 v8, vcc, v6, v8, vcc
	v_cmp_ne_u32_e64 s[0:1], 0, v10
	v_cmp_le_u32_e32 vcc, s19, v8
	v_cndmask_b32_e64 v10, v14, v12, s[0:1]
	v_cndmask_b32_e64 v12, 0, -1, vcc
	v_cmp_le_u32_e32 vcc, s18, v7
	v_cndmask_b32_e64 v7, 0, -1, vcc
	v_cmp_eq_u32_e32 vcc, s19, v8
	v_cndmask_b32_e32 v7, v12, v7, vcc
	v_cmp_ne_u32_e32 vcc, 0, v7
	v_cndmask_b32_e64 v7, v13, v11, s[0:1]
	v_cndmask_b32_e32 v8, v9, v10, vcc
	v_cndmask_b32_e32 v7, v4, v7, vcc
.LBB0_4:                                ;   in Loop: Header=BB0_2 Depth=1
	s_andn2_saveexec_b64 s[0:1], s[20:21]
	s_cbranch_execz .LBB0_6
; %bb.5:                                ;   in Loop: Header=BB0_2 Depth=1
	v_cvt_f32_u32_e32 v4, s18
	s_sub_i32 s20, 0, s18
	v_rcp_iflag_f32_e32 v4, v4
	v_mul_f32_e32 v4, 0x4f7ffffe, v4
	v_cvt_u32_f32_e32 v4, v4
	v_mul_lo_u32 v7, s20, v4
	v_mul_hi_u32 v7, v4, v7
	v_add_u32_e32 v4, v4, v7
	v_mul_hi_u32 v4, v5, v4
	v_mul_lo_u32 v7, v4, s18
	v_add_u32_e32 v8, 1, v4
	v_sub_u32_e32 v7, v5, v7
	v_subrev_u32_e32 v9, s18, v7
	v_cmp_le_u32_e32 vcc, s18, v7
	v_cndmask_b32_e32 v7, v7, v9, vcc
	v_cndmask_b32_e32 v4, v4, v8, vcc
	v_add_u32_e32 v8, 1, v4
	v_cmp_le_u32_e32 vcc, s18, v7
	v_cndmask_b32_e32 v7, v4, v8, vcc
	v_mov_b32_e32 v8, v3
.LBB0_6:                                ;   in Loop: Header=BB0_2 Depth=1
	s_or_b64 exec, exec, s[0:1]
	v_mul_lo_u32 v4, v8, s18
	v_mul_lo_u32 v11, v7, s19
	v_mad_u64_u32 v[9:10], s[0:1], v7, s18, 0
	s_load_dwordx2 s[0:1], s[6:7], 0x0
	s_add_u32 s16, s16, 1
	v_add3_u32 v4, v10, v11, v4
	v_sub_co_u32_e32 v5, vcc, v5, v9
	v_subb_co_u32_e32 v4, vcc, v6, v4, vcc
	s_waitcnt lgkmcnt(0)
	v_mul_lo_u32 v4, s0, v4
	v_mul_lo_u32 v6, s1, v5
	v_mad_u64_u32 v[1:2], s[0:1], s0, v5, v[1:2]
	s_addc_u32 s17, s17, 0
	s_add_u32 s6, s6, 8
	v_add3_u32 v2, v6, v2, v4
	v_mov_b32_e32 v4, s10
	v_mov_b32_e32 v5, s11
	s_addc_u32 s7, s7, 0
	v_cmp_ge_u64_e32 vcc, s[16:17], v[4:5]
	s_add_u32 s14, s14, 8
	s_addc_u32 s15, s15, 0
	s_cbranch_vccnz .LBB0_9
; %bb.7:                                ;   in Loop: Header=BB0_2 Depth=1
	v_mov_b32_e32 v5, v7
	v_mov_b32_e32 v6, v8
	s_branch .LBB0_2
.LBB0_8:
	v_mov_b32_e32 v8, v6
	v_mov_b32_e32 v7, v5
.LBB0_9:
	s_lshl_b64 s[0:1], s[10:11], 3
	s_add_u32 s0, s12, s0
	s_addc_u32 s1, s13, s1
	s_load_dwordx2 s[6:7], s[0:1], 0x0
	s_load_dwordx2 s[10:11], s[4:5], 0x20
	s_waitcnt lgkmcnt(0)
	v_mad_u64_u32 v[1:2], s[0:1], s6, v7, v[1:2]
	s_mov_b32 s0, 0x1f81f82
	v_mul_lo_u32 v3, s6, v8
	v_mul_lo_u32 v4, s7, v7
	v_mul_hi_u32 v5, v0, s0
	v_cmp_gt_u64_e64 s[0:1], s[10:11], v[7:8]
	v_add3_u32 v2, v4, v2, v3
	v_mul_u32_u24_e32 v3, 0x82, v5
	v_sub_u32_e32 v0, v0, v3
	v_lshlrev_b64 v[2:3], 2, v[1:2]
	v_lshl_add_u32 v16, v0, 2, 0
	s_and_saveexec_b64 s[4:5], s[0:1]
	s_cbranch_execz .LBB0_11
; %bb.10:
	v_mov_b32_e32 v1, 0
	v_mov_b32_e32 v4, s3
	v_add_co_u32_e32 v6, vcc, s2, v2
	v_addc_co_u32_e32 v7, vcc, v4, v3, vcc
	v_lshlrev_b64 v[4:5], 2, v[0:1]
	v_add_u32_e32 v15, 0xc00, v16
	v_add_co_u32_e32 v4, vcc, v6, v4
	v_addc_co_u32_e32 v5, vcc, v7, v5, vcc
	global_load_dword v1, v[4:5], off
	global_load_dword v6, v[4:5], off offset:520
	global_load_dword v7, v[4:5], off offset:1040
	;; [unrolled: 1-line block ×7, first 2 shown]
	v_add_co_u32_e32 v4, vcc, 0x1000, v4
	v_addc_co_u32_e32 v5, vcc, 0, v5, vcc
	global_load_dword v13, v[4:5], off offset:64
	global_load_dword v14, v[4:5], off offset:584
	v_add_u32_e32 v4, 0x400, v16
	v_add_u32_e32 v5, 0x800, v16
	s_waitcnt vmcnt(8)
	ds_write2_b32 v16, v1, v6 offset1:130
	s_waitcnt vmcnt(6)
	ds_write2_b32 v4, v7, v8 offset0:4 offset1:134
	s_waitcnt vmcnt(4)
	ds_write2_b32 v5, v9, v10 offset0:8 offset1:138
	s_waitcnt vmcnt(2)
	ds_write2_b32 v15, v11, v12 offset0:12 offset1:142
	v_add_u32_e32 v1, 0x1000, v16
	s_waitcnt vmcnt(0)
	ds_write2_b32 v1, v13, v14 offset0:16 offset1:146
.LBB0_11:
	s_or_b64 exec, exec, s[4:5]
	v_add_u32_e32 v17, 0x800, v16
	v_add_u32_e32 v14, 0xc00, v16
	;; [unrolled: 1-line block ×3, first 2 shown]
	s_waitcnt lgkmcnt(0)
	s_barrier
	ds_read2_b32 v[4:5], v17 offset0:8 offset1:138
	ds_read2_b32 v[6:7], v14 offset0:12 offset1:142
	;; [unrolled: 1-line block ×3, first 2 shown]
	ds_read2_b32 v[10:11], v16 offset1:130
	v_add_u32_e32 v30, 0x1000, v16
	s_movk_i32 s10, 0x3b9c
	s_mov_b32 s4, 0xbb9c
	s_waitcnt lgkmcnt(2)
	v_add_f16_e32 v26, v5, v7
	s_waitcnt lgkmcnt(0)
	v_pk_add_f16 v12, v10, v8
	v_pk_add_f16 v21, v12, v4
	;; [unrolled: 1-line block ×4, first 2 shown]
	ds_read2_b32 v[12:13], v30 offset0:16 offset1:146
	v_sub_f16_e32 v28, v9, v5
	v_pk_add_f16 v22, v22, v7
	v_add_f16_e32 v1, v4, v6
	v_sub_f16_sdwa v25, v8, v4 dst_sel:DWORD dst_unused:UNUSED_PAD src0_sel:WORD_1 src1_sel:WORD_1
	s_waitcnt lgkmcnt(0)
	v_add_f16_e32 v38, v9, v13
	v_sub_f16_e32 v43, v13, v7
	v_sub_f16_sdwa v27, v5, v7 dst_sel:DWORD dst_unused:UNUSED_PAD src0_sel:WORD_1 src1_sel:WORD_1
	v_sub_f16_e32 v29, v5, v9
	v_add_f16_sdwa v31, v5, v7 dst_sel:DWORD dst_unused:UNUSED_PAD src0_sel:WORD_1 src1_sel:WORD_1
	v_sub_f16_e32 v32, v5, v7
	v_sub_f16_sdwa v33, v9, v5 dst_sel:DWORD dst_unused:UNUSED_PAD src0_sel:WORD_1 src1_sel:WORD_1
	v_sub_f16_sdwa v5, v5, v9 dst_sel:DWORD dst_unused:UNUSED_PAD src0_sel:WORD_1 src1_sel:WORD_1
	v_add_f16_e32 v35, v8, v12
	v_sub_f16_sdwa v37, v9, v13 dst_sel:DWORD dst_unused:UNUSED_PAD src0_sel:WORD_1 src1_sel:WORD_1
	v_sub_f16_e32 v39, v9, v13
	v_add_f16_sdwa v9, v9, v13 dst_sel:DWORD dst_unused:UNUSED_PAD src0_sel:WORD_1 src1_sel:WORD_1
	v_pk_add_f16 v21, v21, v6
	v_sub_f16_sdwa v42, v12, v6 dst_sel:DWORD dst_unused:UNUSED_PAD src0_sel:WORD_1 src1_sel:WORD_1
	v_sub_f16_e32 v44, v7, v13
	v_sub_f16_sdwa v45, v13, v7 dst_sel:DWORD dst_unused:UNUSED_PAD src0_sel:WORD_1 src1_sel:WORD_1
	v_sub_f16_sdwa v7, v7, v13 dst_sel:DWORD dst_unused:UNUSED_PAD src0_sel:WORD_1 src1_sel:WORD_1
	v_pk_add_f16 v13, v22, v13
	v_add_f16_e32 v22, v28, v43
	v_fma_f16 v26, v26, -0.5, v11
	v_fma_f16 v28, v38, -0.5, v11
	v_lshrrev_b32_e32 v11, 16, v11
	v_sub_f16_sdwa v15, v4, v6 dst_sel:DWORD dst_unused:UNUSED_PAD src0_sel:WORD_1 src1_sel:WORD_1
	v_sub_f16_e32 v19, v8, v4
	v_sub_f16_e32 v20, v4, v8
	v_add_f16_sdwa v23, v4, v6 dst_sel:DWORD dst_unused:UNUSED_PAD src0_sel:WORD_1 src1_sel:WORD_1
	v_sub_f16_e32 v24, v4, v6
	v_sub_f16_sdwa v4, v4, v8 dst_sel:DWORD dst_unused:UNUSED_PAD src0_sel:WORD_1 src1_sel:WORD_1
	v_sub_f16_sdwa v34, v8, v12 dst_sel:DWORD dst_unused:UNUSED_PAD src0_sel:WORD_1 src1_sel:WORD_1
	v_sub_f16_e32 v36, v8, v12
	v_add_f16_sdwa v8, v8, v12 dst_sel:DWORD dst_unused:UNUSED_PAD src0_sel:WORD_1 src1_sel:WORD_1
	v_sub_f16_e32 v40, v12, v6
	v_sub_f16_e32 v41, v6, v12
	v_sub_f16_sdwa v6, v6, v12 dst_sel:DWORD dst_unused:UNUSED_PAD src0_sel:WORD_1 src1_sel:WORD_1
	v_pk_add_f16 v12, v21, v12
	v_add_f16_e32 v21, v25, v42
	v_fma_f16 v1, v1, -0.5, v10
	v_fma_f16 v25, v35, -0.5, v10
	v_lshrrev_b32_e32 v10, 16, v10
	v_fma_f16 v31, v31, -0.5, v11
	s_movk_i32 s7, 0x38b4
	v_fma_f16 v38, v39, s10, v31
	v_fma_f16 v8, v8, -0.5, v10
	v_fma_f16 v9, v9, -0.5, v11
	v_add_f16_e32 v33, v33, v45
	s_mov_b32 s5, 0xb8b4
	s_movk_i32 s6, 0x34f2
	v_fma_f16 v35, v37, s4, v26
	v_fma_f16 v38, v32, s7, v38
	v_add_f16_e32 v20, v20, v41
	v_fma_f16 v41, v15, s10, v25
	v_fma_f16 v25, v15, s4, v25
	v_add_f16_e32 v4, v4, v6
	;; [unrolled: 3-line block ×3, first 2 shown]
	v_fma_f16 v7, v32, s4, v9
	v_fma_f16 v35, v27, s5, v35
	v_fma_f16 v38, v33, s6, v38
	v_fma_f16 v23, v23, -0.5, v10
	v_fma_f16 v41, v34, s5, v41
	v_fma_f16 v25, v34, s7, v25
	;; [unrolled: 1-line block ×7, first 2 shown]
	v_add_f16_e32 v19, v19, v40
	v_fma_f16 v35, v22, s6, v35
	s_movk_i32 s11, 0x3a79
	v_mul_f16_e32 v40, 0xb8b4, v38
	v_fma_f16 v41, v20, s6, v41
	v_fma_f16 v20, v20, s6, v25
	;; [unrolled: 1-line block ×4, first 2 shown]
	v_add_f16_e32 v8, v29, v44
	v_fma_f16 v10, v37, s5, v10
	v_fma_f16 v25, v27, s4, v28
	;; [unrolled: 1-line block ×5, first 2 shown]
	v_mul_f16_e32 v35, 0x38b4, v35
	v_fma_f16 v10, v8, s6, v10
	v_fma_f16 v25, v37, s7, v25
	;; [unrolled: 1-line block ×3, first 2 shown]
	v_mul_f16_e32 v9, 0xbb9c, v7
	v_mul_f16_e32 v7, 0x34f2, v7
	v_fma_f16 v35, v38, s11, v35
	v_fma_f16 v38, v34, s4, v1
	;; [unrolled: 1-line block ×6, first 2 shown]
	s_mov_b32 s12, 0xb4f2
	v_mul_f16_e32 v10, 0xbb9c, v5
	v_mul_f16_e32 v5, 0xb4f2, v5
	v_fma_f16 v38, v15, s5, v38
	v_fma_f16 v42, v24, s7, v42
	v_fma_f16 v10, v8, s12, v10
	v_fma_f16 v5, v8, s10, v5
	v_fma_f16 v38, v19, s6, v38
	v_fma_f16 v42, v21, s6, v42
	v_add_f16_e32 v8, v20, v10
	v_add_f16_e32 v11, v4, v5
	;; [unrolled: 1-line block ×4, first 2 shown]
	v_pack_b32_f16 v8, v8, v11
	v_add_f16_e32 v11, v41, v9
	v_add_f16_e32 v25, v6, v7
	v_fma_f16 v1, v34, s10, v1
	v_pack_b32_f16 v43, v43, v45
	v_mad_u32_u24 v45, v0, 36, v16
	v_pack_b32_f16 v11, v11, v25
	v_fma_f16 v1, v15, s7, v1
	v_fma_f16 v15, v39, s4, v31
	s_barrier
	ds_write2_b32 v45, v11, v8 offset0:2 offset1:3
	v_fma_f16 v11, v37, s10, v26
	v_fma_f16 v15, v32, s5, v15
	;; [unrolled: 1-line block ×8, first 2 shown]
	s_mov_b32 s13, 0xba79
	v_mul_f16_e32 v19, 0xb8b4, v15
	v_mul_f16_e32 v15, 0xba79, v15
	v_fma_f16 v8, v21, s6, v8
	v_fma_f16 v19, v11, s13, v19
	;; [unrolled: 1-line block ×3, first 2 shown]
	v_sub_f16_e32 v10, v20, v10
	v_add_f16_e32 v20, v1, v19
	v_sub_f16_e32 v1, v1, v19
	v_sub_f16_e32 v6, v6, v7
	;; [unrolled: 1-line block ×4, first 2 shown]
	v_pack_b32_f16 v1, v1, v7
	v_pack_b32_f16 v4, v10, v4
	s_movk_i32 s14, 0xcd
	ds_write2_b32 v45, v4, v1 offset0:8 offset1:9
	v_mul_lo_u16_sdwa v1, v0, s14 dst_sel:DWORD dst_unused:UNUSED_PAD src0_sel:BYTE_0 src1_sel:DWORD
	v_add_f16_e32 v5, v8, v11
	v_lshrrev_b16_e32 v1, 11, v1
	v_sub_f16_e32 v15, v38, v40
	v_sub_f16_e32 v9, v41, v9
	;; [unrolled: 1-line block ×3, first 2 shown]
	v_pk_add_f16 v8, v12, v13 neg_lo:[0,1] neg_hi:[0,1]
	v_pack_b32_f16 v5, v20, v5
	v_mul_lo_u16_e32 v4, 10, v1
	ds_write2_b32 v45, v5, v8 offset0:4 offset1:5
	v_pack_b32_f16 v5, v9, v6
	v_pack_b32_f16 v6, v15, v19
	v_sub_u16_e32 v15, v0, v4
	v_mov_b32_e32 v4, 9
	v_mul_u32_u24_sdwa v4, v15, v4 dst_sel:DWORD dst_unused:UNUSED_PAD src0_sel:BYTE_0 src1_sel:DWORD
	v_pk_add_f16 v46, v12, v13
	v_lshlrev_b32_e32 v12, 2, v4
	ds_write2_b32 v45, v46, v43 offset1:1
	ds_write2_b32 v45, v6, v5 offset0:6 offset1:7
	s_waitcnt lgkmcnt(0)
	s_barrier
	global_load_dwordx4 v[4:7], v12, s[8:9]
	global_load_dwordx4 v[8:11], v12, s[8:9] offset:16
	global_load_dword v21, v12, s[8:9] offset:32
	ds_read2_b32 v[12:13], v18 offset0:4 offset1:134
	v_mul_u32_u24_e32 v1, 0x190, v1
	s_waitcnt lgkmcnt(0)
	v_lshrrev_b32_e32 v19, 16, v12
	s_waitcnt vmcnt(2)
	v_mul_f16_sdwa v20, v5, v12 dst_sel:DWORD dst_unused:UNUSED_PAD src0_sel:WORD_1 src1_sel:DWORD
	v_fma_f16 v22, v5, v19, -v20
	v_mul_f16_sdwa v19, v5, v19 dst_sel:DWORD dst_unused:UNUSED_PAD src0_sel:WORD_1 src1_sel:DWORD
	v_fma_f16 v23, v5, v12, v19
	v_lshrrev_b32_e32 v5, 16, v13
	ds_read2_b32 v[19:20], v16 offset1:130
	v_mul_f16_sdwa v12, v6, v5 dst_sel:DWORD dst_unused:UNUSED_PAD src0_sel:WORD_1 src1_sel:DWORD
	v_fma_f16 v12, v6, v13, v12
	v_mul_f16_sdwa v13, v6, v13 dst_sel:DWORD dst_unused:UNUSED_PAD src0_sel:WORD_1 src1_sel:DWORD
	v_fma_f16 v24, v6, v5, -v13
	ds_read2_b32 v[5:6], v17 offset0:8 offset1:138
	s_waitcnt lgkmcnt(1)
	v_lshrrev_b32_e32 v13, 16, v20
	v_mul_f16_sdwa v25, v4, v20 dst_sel:DWORD dst_unused:UNUSED_PAD src0_sel:WORD_1 src1_sel:DWORD
	v_fma_f16 v25, v4, v13, -v25
	v_mul_f16_sdwa v13, v4, v13 dst_sel:DWORD dst_unused:UNUSED_PAD src0_sel:WORD_1 src1_sel:DWORD
	v_fma_f16 v13, v4, v20, v13
	s_waitcnt lgkmcnt(0)
	v_lshrrev_b32_e32 v4, 16, v5
	v_mul_f16_sdwa v20, v7, v5 dst_sel:DWORD dst_unused:UNUSED_PAD src0_sel:WORD_1 src1_sel:DWORD
	v_fma_f16 v20, v7, v4, -v20
	v_mul_f16_sdwa v4, v7, v4 dst_sel:DWORD dst_unused:UNUSED_PAD src0_sel:WORD_1 src1_sel:DWORD
	v_fma_f16 v26, v7, v5, v4
	ds_read2_b32 v[4:5], v14 offset0:12 offset1:142
	v_lshrrev_b32_e32 v7, 16, v6
	s_waitcnt vmcnt(1)
	v_mul_f16_sdwa v27, v8, v7 dst_sel:DWORD dst_unused:UNUSED_PAD src0_sel:WORD_1 src1_sel:DWORD
	v_fma_f16 v27, v8, v6, v27
	v_mul_f16_sdwa v6, v8, v6 dst_sel:DWORD dst_unused:UNUSED_PAD src0_sel:WORD_1 src1_sel:DWORD
	v_fma_f16 v28, v8, v7, -v6
	s_waitcnt lgkmcnt(0)
	v_lshrrev_b32_e32 v6, 16, v4
	v_mul_f16_sdwa v7, v4, v9 dst_sel:DWORD dst_unused:UNUSED_PAD src0_sel:DWORD src1_sel:WORD_1
	v_fma_f16 v29, v6, v9, -v7
	v_mul_f16_sdwa v6, v6, v9 dst_sel:DWORD dst_unused:UNUSED_PAD src0_sel:DWORD src1_sel:WORD_1
	v_fma_f16 v31, v4, v9, v6
	ds_read2_b32 v[6:7], v30 offset0:16 offset1:146
	v_lshrrev_b32_e32 v4, 16, v5
	v_mul_f16_sdwa v8, v4, v10 dst_sel:DWORD dst_unused:UNUSED_PAD src0_sel:DWORD src1_sel:WORD_1
	v_fma_f16 v8, v5, v10, v8
	v_mul_f16_sdwa v5, v5, v10 dst_sel:DWORD dst_unused:UNUSED_PAD src0_sel:DWORD src1_sel:WORD_1
	v_fma_f16 v30, v4, v10, -v5
	s_waitcnt lgkmcnt(0)
	v_lshrrev_b32_e32 v4, 16, v6
	v_mul_f16_sdwa v5, v6, v11 dst_sel:DWORD dst_unused:UNUSED_PAD src0_sel:DWORD src1_sel:WORD_1
	v_fma_f16 v32, v4, v11, -v5
	v_mul_f16_sdwa v4, v4, v11 dst_sel:DWORD dst_unused:UNUSED_PAD src0_sel:DWORD src1_sel:WORD_1
	v_fma_f16 v33, v6, v11, v4
	v_lshrrev_b32_e32 v4, 16, v7
	s_waitcnt vmcnt(0)
	v_mul_f16_sdwa v5, v4, v21 dst_sel:DWORD dst_unused:UNUSED_PAD src0_sel:DWORD src1_sel:WORD_1
	v_mul_f16_sdwa v6, v7, v21 dst_sel:DWORD dst_unused:UNUSED_PAD src0_sel:DWORD src1_sel:WORD_1
	v_fma_f16 v5, v7, v21, v5
	v_fma_f16 v21, v4, v21, -v6
	v_sub_f16_e32 v4, v23, v26
	v_sub_f16_e32 v6, v33, v31
	v_add_f16_e32 v4, v4, v6
	v_add_f16_e32 v6, v26, v31
	v_fma_f16 v6, v6, -0.5, v19
	v_sub_f16_e32 v7, v22, v32
	v_fma_f16 v9, v7, s4, v6
	v_sub_f16_e32 v10, v20, v29
	v_fma_f16 v6, v7, s10, v6
	v_fma_f16 v9, v10, s5, v9
	;; [unrolled: 1-line block ×5, first 2 shown]
	v_sub_f16_e32 v4, v26, v23
	v_sub_f16_e32 v6, v31, v33
	v_add_f16_e32 v4, v4, v6
	v_add_f16_e32 v6, v23, v33
	v_fma_f16 v6, v6, -0.5, v19
	v_fma_f16 v34, v10, s10, v6
	v_fma_f16 v6, v10, s4, v6
	;; [unrolled: 1-line block ×6, first 2 shown]
	v_sub_f16_e32 v4, v12, v27
	v_sub_f16_e32 v6, v5, v8
	v_add_f16_e32 v4, v4, v6
	v_add_f16_e32 v6, v27, v8
	v_fma_f16 v6, v6, -0.5, v13
	v_sub_f16_e32 v34, v24, v21
	v_fma_f16 v35, v34, s4, v6
	v_sub_f16_e32 v36, v28, v30
	v_fma_f16 v6, v34, s10, v6
	v_fma_f16 v35, v36, s5, v35
	;; [unrolled: 1-line block ×5, first 2 shown]
	v_sub_f16_e32 v4, v27, v12
	v_sub_f16_e32 v6, v8, v5
	v_add_f16_e32 v4, v4, v6
	v_add_f16_e32 v6, v12, v5
	v_fma_f16 v6, v6, -0.5, v13
	v_fma_f16 v38, v36, s10, v6
	v_fma_f16 v6, v36, s4, v6
	;; [unrolled: 1-line block ×6, first 2 shown]
	v_add_f16_e32 v4, v13, v12
	v_add_f16_e32 v4, v4, v27
	;; [unrolled: 1-line block ×4, first 2 shown]
	v_sub_f16_e32 v4, v12, v5
	v_sub_f16_e32 v5, v27, v8
	;; [unrolled: 1-line block ×4, first 2 shown]
	v_add_f16_e32 v8, v8, v12
	v_add_f16_e32 v12, v28, v30
	v_fma_f16 v12, v12, -0.5, v25
	v_fma_f16 v13, v4, s10, v12
	v_fma_f16 v12, v4, s4, v12
	;; [unrolled: 1-line block ×6, first 2 shown]
	v_sub_f16_e32 v8, v28, v24
	v_sub_f16_e32 v12, v30, v21
	v_add_f16_e32 v8, v8, v12
	v_add_f16_e32 v12, v24, v21
	v_fma_f16 v12, v12, -0.5, v25
	v_fma_f16 v13, v5, s4, v12
	v_fma_f16 v5, v5, s10, v12
	;; [unrolled: 1-line block ×5, first 2 shown]
	v_add_f16_e32 v4, v19, v23
	v_add_f16_e32 v4, v4, v26
	v_fma_f16 v39, v8, s6, v12
	v_add_f16_e32 v4, v4, v31
	v_add_f16_e32 v41, v4, v33
	v_mul_f16_e32 v4, 0xb8b4, v27
	v_mul_f16_e32 v12, 0xbb9c, v39
	v_fma_f16 v8, v35, s11, v4
	v_fma_f16 v12, v34, s6, v12
	v_add_f16_e32 v5, v9, v8
	v_sub_f16_e32 v8, v9, v8
	v_sub_f16_e32 v9, v7, v12
	v_add_f16_e32 v12, v7, v12
	v_mul_f16_e32 v7, 0xbb9c, v40
	v_fma_f16 v42, v36, s12, v7
	v_mul_f16_e32 v7, 0xb8b4, v38
	v_add_f16_e32 v4, v41, v6
	v_fma_f16 v43, v37, s13, v7
	v_sub_f16_e32 v7, v41, v6
	v_lshrrev_b32_e32 v41, 16, v19
	v_sub_f16_e32 v33, v23, v33
	v_sub_f16_e32 v19, v22, v20
	;; [unrolled: 1-line block ×4, first 2 shown]
	v_add_f16_e32 v31, v19, v23
	v_add_f16_e32 v19, v25, v24
	;; [unrolled: 1-line block ×5, first 2 shown]
	v_mul_f16_e32 v19, 0x3a79, v27
	v_fma_f16 v25, v35, s7, v19
	v_mov_b32_e32 v19, 2
	v_lshlrev_b32_sdwa v15, v19, v15 dst_sel:DWORD dst_unused:UNUSED_PAD src0_sel:DWORD src1_sel:BYTE_0
	v_add3_u32 v15, 0, v1, v15
	v_add_f16_e32 v1, v41, v22
	v_add_f16_e32 v1, v1, v20
	;; [unrolled: 1-line block ×5, first 2 shown]
	v_fma_f16 v27, v1, -0.5, v41
	v_fma_f16 v1, v33, s10, v27
	v_fma_f16 v1, v26, s7, v1
	;; [unrolled: 1-line block ×3, first 2 shown]
	v_add_f16_e32 v1, v24, v21
	v_add_f16_e32 v19, v30, v25
	v_pack_b32_f16 v23, v4, v1
	v_pack_b32_f16 v28, v5, v19
	s_barrier
	ds_write2_b32 v15, v23, v28 offset1:10
	v_add_f16_e32 v23, v22, v32
	v_fma_f16 v23, v23, -0.5, v41
	v_sub_f16_e32 v20, v20, v22
	v_sub_f16_e32 v22, v29, v32
	v_add_f16_e32 v20, v20, v22
	v_fma_f16 v22, v26, s4, v23
	v_fma_f16 v22, v33, s7, v22
	;; [unrolled: 1-line block ×6, first 2 shown]
	v_mul_f16_e32 v22, 0x34f2, v39
	v_fma_f16 v32, v34, s10, v22
	v_mul_f16_e32 v22, 0xb4f2, v40
	v_fma_f16 v34, v36, s10, v22
	v_fma_f16 v27, v33, s4, v27
	v_add_f16_e32 v13, v10, v42
	v_add_f16_e32 v22, v29, v32
	;; [unrolled: 1-line block ×3, first 2 shown]
	v_fma_f16 v26, v26, s5, v27
	v_mul_f16_e32 v27, 0xba79, v38
	v_pack_b32_f16 v28, v12, v22
	v_pack_b32_f16 v35, v13, v23
	v_fma_f16 v26, v31, s6, v26
	v_fma_f16 v31, v37, s7, v27
	v_add_f16_e32 v6, v11, v43
	ds_write2_b32 v15, v28, v35 offset0:20 offset1:30
	v_sub_f16_e32 v24, v24, v21
	v_add_f16_e32 v28, v26, v31
	v_pack_b32_f16 v21, v6, v28
	v_pack_b32_f16 v27, v7, v24
	ds_write2_b32 v15, v21, v27 offset0:40 offset1:50
	v_sub_f16_e32 v25, v30, v25
	v_sub_f16_e32 v27, v29, v32
	v_pack_b32_f16 v21, v8, v25
	v_pack_b32_f16 v29, v9, v27
	v_sub_f16_e32 v10, v10, v42
	v_sub_f16_e32 v11, v11, v43
	ds_write2_b32 v15, v21, v29 offset0:60 offset1:70
	v_sub_f16_e32 v20, v20, v34
	v_sub_f16_e32 v21, v26, v31
	s_movk_i32 s4, 0x64
	v_pack_b32_f16 v26, v10, v20
	v_pack_b32_f16 v29, v11, v21
	v_cmp_gt_u32_e32 vcc, s4, v0
	ds_write2_b32 v15, v26, v29 offset0:80 offset1:90
	s_waitcnt lgkmcnt(0)
	s_barrier
	s_waitcnt lgkmcnt(0)
                                        ; implicit-def: $vgpr31
                                        ; implicit-def: $vgpr26
                                        ; implicit-def: $vgpr29
                                        ; implicit-def: $vgpr30
                                        ; implicit-def: $vgpr15
	s_and_saveexec_b64 s[4:5], vcc
	s_cbranch_execz .LBB0_13
; %bb.12:
	v_add_u32_e32 v8, 0xe00, v16
	ds_read2_b32 v[4:5], v16 offset1:100
	v_add_u32_e32 v1, 0x200, v16
	ds_read2_b32 v[6:7], v18 offset0:144 offset1:244
	ds_read2_b32 v[10:11], v14 offset0:32 offset1:132
	;; [unrolled: 1-line block ×5, first 2 shown]
	ds_read_b32 v26, v16 offset:4800
	s_waitcnt lgkmcnt(6)
	v_lshrrev_b32_e32 v1, 16, v4
	s_waitcnt lgkmcnt(4)
	v_lshrrev_b32_e32 v20, 16, v10
	v_lshrrev_b32_e32 v21, 16, v11
	s_waitcnt lgkmcnt(2)
	v_lshrrev_b32_e32 v30, 16, v14
	;; [unrolled: 3-line block ×3, first 2 shown]
	v_lshrrev_b32_e32 v19, 16, v5
	v_lshrrev_b32_e32 v22, 16, v12
	;; [unrolled: 1-line block ×7, first 2 shown]
.LBB0_13:
	s_or_b64 exec, exec, s[4:5]
	s_barrier
	s_and_saveexec_b64 s[4:5], vcc
	s_cbranch_execz .LBB0_15
; %bb.14:
	v_add_u32_e32 v17, 0xffffff9c, v0
	v_cndmask_b32_e32 v17, v17, v0, vcc
	v_mul_i32_i24_e32 v17, 12, v17
	v_mov_b32_e32 v18, 0
	v_lshlrev_b64 v[17:18], 2, v[17:18]
	v_mov_b32_e32 v32, s9
	v_add_co_u32_e32 v17, vcc, s8, v17
	v_addc_co_u32_e32 v18, vcc, v32, v18, vcc
	global_load_dwordx4 v[32:35], v[17:18], off offset:360
	global_load_dwordx4 v[36:39], v[17:18], off offset:392
	;; [unrolled: 1-line block ×3, first 2 shown]
	s_movk_i32 s11, 0x33a8
	s_mov_b32 s6, 0xb770
	s_movk_i32 s10, 0x394e
	s_mov_b32 s7, 0xba95
	s_movk_i32 s12, 0x3b7b
	s_mov_b32 s14, 0xbbf1
	s_mov_b32 s13, 0xbbc4
	s_movk_i32 s15, 0x3b15
	s_mov_b32 s16, 0xb9fd
	s_movk_i32 s17, 0x388b
	;; [unrolled: 2-line block ×3, first 2 shown]
	s_movk_i32 s23, 0x3a95
	s_mov_b32 s20, 0xb3a8
	s_mov_b32 s21, 0xb94e
	s_movk_i32 s22, 0x3bf1
	s_movk_i32 s25, 0x3770
	s_mov_b32 s24, 0xbb7b
	s_waitcnt vmcnt(2)
	v_mul_f16_sdwa v18, v22, v33 dst_sel:DWORD dst_unused:UNUSED_PAD src0_sel:DWORD src1_sel:WORD_1
	v_mul_f16_sdwa v45, v13, v34 dst_sel:DWORD dst_unused:UNUSED_PAD src0_sel:DWORD src1_sel:WORD_1
	s_waitcnt vmcnt(1)
	v_mul_f16_sdwa v46, v26, v39 dst_sel:DWORD dst_unused:UNUSED_PAD src0_sel:DWORD src1_sel:WORD_1
	v_mul_f16_sdwa v47, v5, v32 dst_sel:DWORD dst_unused:UNUSED_PAD src0_sel:DWORD src1_sel:WORD_1
	v_mul_f16_sdwa v17, v12, v33 dst_sel:DWORD dst_unused:UNUSED_PAD src0_sel:DWORD src1_sel:WORD_1
	v_mul_f16_sdwa v44, v23, v34 dst_sel:DWORD dst_unused:UNUSED_PAD src0_sel:DWORD src1_sel:WORD_1
	v_mul_f16_sdwa v48, v19, v32 dst_sel:DWORD dst_unused:UNUSED_PAD src0_sel:DWORD src1_sel:WORD_1
	v_mul_f16_sdwa v49, v6, v35 dst_sel:DWORD dst_unused:UNUSED_PAD src0_sel:DWORD src1_sel:WORD_1
	v_mul_f16_sdwa v51, v31, v39 dst_sel:DWORD dst_unused:UNUSED_PAD src0_sel:DWORD src1_sel:WORD_1
	v_mul_f16_sdwa v52, v15, v38 dst_sel:DWORD dst_unused:UNUSED_PAD src0_sel:DWORD src1_sel:WORD_1
	v_mul_f16_sdwa v55, v14, v37 dst_sel:DWORD dst_unused:UNUSED_PAD src0_sel:DWORD src1_sel:WORD_1
	v_fma_f16 v12, v12, v33, v18
	v_fma_f16 v18, v19, v32, -v47
	v_fma_f16 v19, v23, v34, -v45
	;; [unrolled: 1-line block ×3, first 2 shown]
	v_mul_f16_sdwa v50, v28, v35 dst_sel:DWORD dst_unused:UNUSED_PAD src0_sel:DWORD src1_sel:WORD_1
	v_mul_f16_sdwa v53, v29, v38 dst_sel:DWORD dst_unused:UNUSED_PAD src0_sel:DWORD src1_sel:WORD_1
	;; [unrolled: 1-line block ×3, first 2 shown]
	s_waitcnt vmcnt(0)
	v_mul_f16_sdwa v62, v9, v42 dst_sel:DWORD dst_unused:UNUSED_PAD src0_sel:DWORD src1_sel:WORD_1
	v_mul_f16_sdwa v65, v27, v42 dst_sel:DWORD dst_unused:UNUSED_PAD src0_sel:DWORD src1_sel:WORD_1
	v_fma_f16 v17, v22, v33, -v17
	v_fma_f16 v22, v28, v35, -v49
	v_fma_f16 v5, v5, v32, v48
	v_fma_f16 v26, v26, v39, v51
	v_fma_f16 v28, v29, v38, -v52
	v_fma_f16 v29, v30, v37, -v55
	v_add_f16_e32 v30, v18, v23
	v_mul_f16_sdwa v56, v11, v36 dst_sel:DWORD dst_unused:UNUSED_PAD src0_sel:DWORD src1_sel:WORD_1
	v_mul_f16_sdwa v58, v10, v43 dst_sel:DWORD dst_unused:UNUSED_PAD src0_sel:DWORD src1_sel:WORD_1
	;; [unrolled: 1-line block ×3, first 2 shown]
	v_fma_f16 v15, v15, v38, v53
	v_fma_f16 v27, v27, v42, -v62
	v_fma_f16 v9, v9, v42, v65
	v_sub_f16_e32 v31, v5, v26
	v_add_f16_e32 v32, v17, v28
	v_mul_f16_e32 v42, 0xbbc4, v30
	v_mul_f16_sdwa v57, v21, v36 dst_sel:DWORD dst_unused:UNUSED_PAD src0_sel:DWORD src1_sel:WORD_1
	v_mul_f16_sdwa v59, v7, v40 dst_sel:DWORD dst_unused:UNUSED_PAD src0_sel:DWORD src1_sel:WORD_1
	v_fma_f16 v13, v13, v34, v44
	v_fma_f16 v14, v14, v37, v54
	v_fma_f16 v21, v21, v36, -v56
	v_fma_f16 v20, v20, v43, -v58
	v_fma_f16 v10, v10, v43, v61
	v_sub_f16_e32 v33, v12, v15
	v_add_f16_e32 v34, v19, v29
	v_mul_f16_e32 v43, 0x3b15, v32
	v_fma_f16 v48, v31, s11, v42
	v_mul_f16_sdwa v60, v24, v40 dst_sel:DWORD dst_unused:UNUSED_PAD src0_sel:DWORD src1_sel:WORD_1
	v_mul_f16_sdwa v63, v8, v41 dst_sel:DWORD dst_unused:UNUSED_PAD src0_sel:DWORD src1_sel:WORD_1
	v_fma_f16 v6, v6, v35, v50
	v_fma_f16 v11, v11, v36, v57
	v_fma_f16 v24, v24, v40, -v59
	v_sub_f16_e32 v35, v13, v14
	v_add_f16_e32 v36, v22, v21
	v_mul_f16_e32 v44, 0xb9fd, v34
	v_fma_f16 v49, v33, s6, v43
	v_add_f16_e32 v48, v1, v48
	v_mul_f16_sdwa v64, v25, v41 dst_sel:DWORD dst_unused:UNUSED_PAD src0_sel:DWORD src1_sel:WORD_1
	v_fma_f16 v7, v7, v40, v60
	v_fma_f16 v25, v25, v41, -v63
	v_sub_f16_e32 v37, v6, v11
	v_add_f16_e32 v38, v24, v20
	v_mul_f16_e32 v45, 0x388b, v36
	v_fma_f16 v50, v35, s10, v44
	v_add_f16_e32 v48, v49, v48
	v_fma_f16 v8, v8, v41, v64
	v_sub_f16_e32 v39, v7, v10
	v_add_f16_e32 v40, v25, v27
	v_mul_f16_e32 v46, 0xb5ac, v38
	v_fma_f16 v51, v37, s7, v45
	v_add_f16_e32 v48, v50, v48
	v_sub_f16_e32 v41, v8, v9
	v_mul_f16_e32 v47, 0x2fb7, v40
	v_fma_f16 v52, v39, s12, v46
	v_add_f16_e32 v48, v51, v48
	v_sub_f16_e32 v50, v18, v23
	v_fma_f16 v53, v41, s14, v47
	v_add_f16_e32 v48, v52, v48
	v_add_f16_e32 v49, v5, v26
	v_mul_f16_e32 v51, 0xb3a8, v50
	v_sub_f16_e32 v54, v17, v28
	v_add_f16_e32 v48, v53, v48
	v_fma_f16 v52, v49, s13, v51
	v_add_f16_e32 v53, v12, v15
	v_mul_f16_e32 v55, 0x3770, v54
	v_add_f16_e32 v52, v4, v52
	v_fma_f16 v56, v53, s15, v55
	v_sub_f16_e32 v57, v19, v29
	v_add_f16_e32 v52, v56, v52
	v_add_f16_e32 v56, v13, v14
	v_mul_f16_e32 v58, 0xb94e, v57
	v_fma_f16 v59, v56, s16, v58
	v_sub_f16_e32 v60, v22, v21
	v_add_f16_e32 v52, v59, v52
	v_add_f16_e32 v59, v6, v11
	v_mul_f16_e32 v61, 0x3a95, v60
	;; [unrolled: 5-line block ×4, first 2 shown]
	v_fma_f16 v68, v65, s19, v67
	v_add_f16_e32 v52, v68, v52
	v_mul_f16_e32 v68, 0xb9fd, v30
	v_fma_f16 v69, v31, s10, v68
	v_mul_f16_e32 v70, 0x2fb7, v32
	v_add_f16_e32 v69, v1, v69
	v_fma_f16 v71, v33, s14, v70
	v_add_f16_e32 v69, v71, v69
	v_mul_f16_e32 v71, 0x388b, v34
	v_fma_f16 v72, v35, s23, v71
	v_add_f16_e32 v69, v72, v69
	v_mul_f16_e32 v72, 0xbbc4, v36
	;; [unrolled: 3-line block ×5, first 2 shown]
	v_fma_f16 v76, v49, s16, v75
	v_mul_f16_e32 v77, 0x3bf1, v54
	v_add_f16_e32 v76, v4, v76
	v_fma_f16 v78, v53, s19, v77
	v_add_f16_e32 v76, v78, v76
	v_mul_f16_e32 v78, 0xba95, v57
	v_fma_f16 v79, v56, s17, v78
	v_add_f16_e32 v76, v79, v76
	v_mul_f16_e32 v79, 0x33a8, v60
	;; [unrolled: 3-line block ×5, first 2 shown]
	v_fma_f16 v83, v31, s12, v82
	v_mul_f16_e32 v84, 0xb9fd, v32
	v_add_f16_e32 v83, v1, v83
	v_fma_f16 v85, v33, s21, v84
	v_add_f16_e32 v83, v85, v83
	v_mul_f16_e32 v85, 0x3b15, v34
	v_fma_f16 v86, v35, s6, v85
	v_add_f16_e32 v5, v4, v5
	v_add_f16_e32 v83, v86, v83
	v_mul_f16_e32 v86, 0x2fb7, v36
	v_add_f16_e32 v5, v5, v12
	v_fma_f16 v87, v37, s22, v86
	v_add_f16_e32 v5, v5, v13
	v_add_f16_e32 v83, v87, v83
	v_mul_f16_e32 v87, 0xbbc4, v38
	v_add_f16_e32 v5, v5, v6
	v_fma_f16 v88, v39, s20, v87
	v_add_f16_e32 v5, v5, v7
	v_fma_f16 v7, v31, s20, v42
	v_add_f16_e32 v83, v88, v83
	v_mul_f16_e32 v88, 0x388b, v40
	v_add_f16_e32 v5, v5, v8
	v_add_f16_e32 v7, v1, v7
	v_fma_f16 v8, v33, s25, v43
	v_fma_f16 v89, v41, s7, v88
	v_add_f16_e32 v7, v8, v7
	v_fma_f16 v8, v35, s21, v44
	v_add_f16_e32 v83, v89, v83
	v_mul_f16_e32 v89, 0xbb7b, v50
	v_add_f16_e32 v7, v8, v7
	v_fma_f16 v8, v37, s23, v45
	v_fma_f16 v90, v49, s18, v89
	v_mul_f16_e32 v91, 0x394e, v54
	v_add_f16_e32 v7, v8, v7
	v_fma_f16 v8, v39, s24, v46
	v_add_f16_e32 v90, v4, v90
	v_fma_f16 v92, v53, s16, v91
	;; [unrolled: 2-line block ×3, first 2 shown]
	v_add_f16_e32 v90, v92, v90
	v_mul_f16_e32 v92, 0x3770, v57
	v_add_f16_e32 v7, v8, v7
	v_fma_f16 v8, v49, s13, -v51
	v_fma_f16 v93, v56, s15, v92
	v_add_f16_e32 v5, v5, v9
	v_add_f16_e32 v8, v4, v8
	v_fma_f16 v9, v53, s15, -v55
	v_add_f16_e32 v90, v93, v90
	v_mul_f16_e32 v93, 0xbbf1, v60
	v_add_f16_e32 v8, v9, v8
	v_fma_f16 v9, v56, s16, -v58
	v_fma_f16 v94, v59, s19, v93
	v_add_f16_e32 v8, v9, v8
	v_fma_f16 v9, v59, s17, -v61
	v_add_f16_e32 v90, v94, v90
	v_mul_f16_e32 v94, 0x33a8, v63
	v_add_f16_e32 v8, v9, v8
	v_fma_f16 v9, v62, s18, -v64
	v_fma_f16 v95, v62, s13, v94
	v_add_f16_e32 v8, v9, v8
	v_fma_f16 v9, v65, s19, -v67
	v_add_f16_e32 v90, v95, v90
	v_mul_f16_e32 v95, 0x3a95, v66
	v_add_f16_e32 v8, v9, v8
	v_fma_f16 v9, v31, s21, v68
	v_fma_f16 v96, v65, s17, v95
	v_add_f16_e32 v5, v5, v10
	v_add_f16_e32 v9, v1, v9
	v_fma_f16 v10, v33, s22, v70
	v_add_f16_e32 v90, v96, v90
	v_mul_f16_e32 v96, 0x2fb7, v30
	v_add_f16_e32 v9, v10, v9
	v_fma_f16 v10, v35, s7, v71
	v_fma_f16 v97, v31, s22, v96
	v_mul_f16_e32 v98, 0xbbc4, v32
	v_add_f16_e32 v9, v10, v9
	v_fma_f16 v10, v37, s11, v72
	v_add_f16_e32 v97, v1, v97
	v_fma_f16 v99, v33, s11, v98
	v_add_f16_e32 v9, v10, v9
	v_fma_f16 v10, v39, s25, v73
	v_add_f16_e32 v97, v99, v97
	v_mul_f16_e32 v99, 0xb5ac, v34
	v_add_f16_e32 v9, v10, v9
	v_fma_f16 v10, v41, s24, v74
	v_fma_f16 v100, v35, s24, v99
	v_add_f16_e32 v9, v10, v9
	v_fma_f16 v10, v49, s16, -v75
	v_add_f16_e32 v97, v100, v97
	v_mul_f16_e32 v100, 0x3b15, v36
	v_add_f16_e32 v5, v5, v11
	v_add_f16_e32 v10, v4, v10
	v_fma_f16 v11, v53, s19, -v77
	v_fma_f16 v101, v37, s6, v100
	v_add_f16_e32 v10, v11, v10
	v_fma_f16 v11, v56, s17, -v78
	v_add_f16_e32 v97, v101, v97
	v_mul_f16_e32 v101, 0x388b, v38
	v_add_f16_e32 v10, v11, v10
	v_fma_f16 v11, v59, s13, -v79
	v_fma_f16 v102, v39, s23, v101
	v_add_f16_e32 v10, v11, v10
	v_fma_f16 v11, v62, s15, -v80
	v_add_f16_e32 v97, v102, v97
	v_mul_f16_e32 v102, 0xb9fd, v40
	v_add_f16_e32 v10, v11, v10
	v_fma_f16 v11, v65, s18, -v81
	v_fma_f16 v103, v41, s10, v102
	v_add_f16_e32 v10, v11, v10
	v_fma_f16 v11, v31, s24, v82
	v_add_f16_e32 v97, v103, v97
	v_mul_f16_e32 v103, 0xbbf1, v50
	v_add_f16_e32 v11, v1, v11
	v_fma_f16 v12, v33, s10, v84
	v_fma_f16 v104, v49, s19, v103
	v_mul_f16_e32 v105, 0xb3a8, v54
	v_add_f16_e32 v11, v12, v11
	v_fma_f16 v12, v35, s25, v85
	v_add_f16_e32 v104, v4, v104
	v_fma_f16 v106, v53, s13, v105
	v_add_f16_e32 v11, v12, v11
	v_fma_f16 v12, v37, s14, v86
	v_add_f16_e32 v104, v106, v104
	v_mul_f16_e32 v106, 0x3b7b, v57
	v_add_f16_e32 v11, v12, v11
	v_fma_f16 v12, v39, s11, v87
	v_fma_f16 v107, v56, s18, v106
	v_add_f16_e32 v11, v12, v11
	v_fma_f16 v12, v41, s23, v88
	v_add_f16_e32 v104, v107, v104
	v_mul_f16_e32 v107, 0x3770, v60
	v_add_f16_e32 v11, v12, v11
	v_fma_f16 v12, v49, s18, -v89
	v_fma_f16 v108, v59, s15, v107
	v_add_f16_e32 v12, v4, v12
	v_fma_f16 v13, v53, s16, -v91
	v_add_f16_e32 v104, v108, v104
	v_mul_f16_e32 v108, 0xba95, v63
	v_add_f16_e32 v12, v13, v12
	v_fma_f16 v13, v56, s15, -v92
	v_fma_f16 v109, v62, s17, v108
	v_add_f16_e32 v12, v13, v12
	v_fma_f16 v13, v59, s19, -v93
	;; [unrolled: 7-line block ×3, first 2 shown]
	v_add_f16_e32 v104, v110, v104
	v_mul_f16_e32 v110, 0x388b, v30
	v_add_f16_e32 v12, v13, v12
	v_fma_f16 v13, v31, s14, v96
	v_fma_f16 v111, v31, s23, v110
	v_mul_f16_e32 v112, 0xb5ac, v32
	v_add_f16_e32 v5, v5, v14
	v_add_f16_e32 v13, v1, v13
	v_fma_f16 v14, v33, s20, v98
	v_add_f16_e32 v111, v1, v111
	v_fma_f16 v113, v33, s12, v112
	;; [unrolled: 2-line block ×3, first 2 shown]
	v_add_f16_e32 v111, v113, v111
	v_mul_f16_e32 v113, 0xbbc4, v34
	v_add_f16_e32 v13, v14, v13
	v_fma_f16 v14, v37, s25, v100
	v_fma_f16 v114, v35, s11, v113
	v_add_f16_e32 v13, v14, v13
	v_fma_f16 v14, v39, s7, v101
	v_add_f16_e32 v111, v114, v111
	v_mul_f16_e32 v114, 0xb9fd, v36
	v_add_f16_e32 v13, v14, v13
	v_fma_f16 v14, v41, s21, v102
	v_fma_f16 v115, v37, s21, v114
	v_add_f16_e32 v13, v14, v13
	v_fma_f16 v14, v49, s19, -v103
	v_add_f16_e32 v111, v115, v111
	v_mul_f16_e32 v115, 0x2fb7, v38
	v_add_f16_e32 v5, v5, v15
	v_add_f16_e32 v14, v4, v14
	v_fma_f16 v15, v53, s13, -v105
	v_fma_f16 v116, v39, s14, v115
	v_add_f16_e32 v14, v15, v14
	v_fma_f16 v15, v56, s18, -v106
	v_add_f16_e32 v111, v116, v111
	v_mul_f16_e32 v116, 0x3b15, v40
	v_add_f16_e32 v14, v15, v14
	v_fma_f16 v15, v59, s15, -v107
	v_fma_f16 v117, v41, s6, v116
	v_add_f16_e32 v14, v15, v14
	v_fma_f16 v15, v62, s17, -v108
	v_add_f16_e32 v111, v117, v111
	v_mul_f16_e32 v117, 0xba95, v50
	v_add_f16_e32 v14, v15, v14
	v_fma_f16 v15, v65, s16, -v109
	v_fma_f16 v118, v49, s17, v117
	v_mul_f16_e32 v119, 0xbb7b, v54
	v_add_f16_e32 v6, v1, v18
	v_add_f16_e32 v14, v15, v14
	v_fma_f16 v15, v31, s7, v110
	v_add_f16_e32 v118, v4, v118
	v_fma_f16 v120, v53, s18, v119
	v_add_f16_e32 v6, v6, v17
	v_add_f16_e32 v15, v1, v15
	v_fma_f16 v17, v33, s24, v112
	v_add_f16_e32 v118, v120, v118
	v_mul_f16_e32 v120, 0xb3a8, v57
	v_add_f16_e32 v15, v17, v15
	v_fma_f16 v17, v35, s20, v113
	v_fma_f16 v121, v56, s13, v120
	v_add_f16_e32 v15, v17, v15
	v_fma_f16 v17, v37, s10, v114
	v_add_f16_e32 v118, v121, v118
	v_mul_f16_e32 v121, 0x394e, v60
	v_add_f16_e32 v15, v17, v15
	v_fma_f16 v17, v39, s22, v115
	v_fma_f16 v122, v59, s16, v121
	v_add_f16_e32 v15, v17, v15
	v_fma_f16 v17, v41, s25, v116
	v_add_f16_e32 v118, v122, v118
	v_mul_f16_e32 v122, 0x3bf1, v63
	v_add_f16_e32 v15, v17, v15
	v_fma_f16 v17, v49, s17, -v117
	v_fma_f16 v123, v62, s19, v122
	v_add_f16_e32 v17, v4, v17
	v_fma_f16 v18, v53, s18, -v119
	v_add_f16_e32 v118, v123, v118
	v_mul_f16_e32 v123, 0x3770, v66
	v_add_f16_e32 v17, v18, v17
	v_fma_f16 v18, v56, s13, -v120
	v_fma_f16 v124, v65, s15, v123
	v_mul_f16_e32 v30, 0x3b15, v30
	v_add_f16_e32 v17, v18, v17
	v_fma_f16 v18, v59, s16, -v121
	v_add_f16_e32 v118, v124, v118
	v_fma_f16 v124, v31, s25, v30
	v_mul_f16_e32 v32, 0x388b, v32
	v_add_f16_e32 v17, v18, v17
	v_fma_f16 v18, v62, s19, -v122
	v_add_f16_e32 v124, v1, v124
	;; [unrolled: 5-line block ×3, first 2 shown]
	v_fma_f16 v125, v35, s22, v34
	v_mul_f16_e32 v36, 0xb5ac, v36
	v_add_f16_e32 v17, v18, v17
	v_fma_f16 v18, v31, s6, v30
	v_add_f16_e32 v124, v125, v124
	v_fma_f16 v125, v37, s12, v36
	v_mul_f16_e32 v38, 0xb9fd, v38
	v_add_f16_e32 v6, v6, v19
	v_add_f16_e32 v1, v1, v18
	v_fma_f16 v18, v33, s7, v32
	v_add_f16_e32 v124, v125, v124
	v_fma_f16 v125, v39, s10, v38
	v_mul_f16_e32 v40, 0xbbc4, v40
	v_add_f16_e32 v6, v6, v22
	v_add_f16_e32 v1, v18, v1
	v_fma_f16 v18, v35, s14, v34
	v_add_f16_e32 v124, v125, v124
	v_fma_f16 v125, v41, s11, v40
	v_mul_f16_e32 v50, 0xb770, v50
	v_add_f16_e32 v6, v6, v24
	v_add_f16_e32 v1, v18, v1
	v_fma_f16 v18, v37, s24, v36
	v_add_f16_e32 v124, v125, v124
	v_fma_f16 v125, v49, s15, v50
	v_mul_f16_e32 v54, 0xba95, v54
	v_add_f16_e32 v6, v6, v25
	v_add_f16_e32 v1, v18, v1
	v_fma_f16 v18, v39, s21, v38
	v_add_f16_e32 v125, v4, v125
	v_fma_f16 v126, v53, s17, v54
	v_mul_f16_e32 v57, 0xbbf1, v57
	v_add_f16_e32 v6, v6, v27
	v_add_f16_e32 v1, v18, v1
	v_fma_f16 v18, v41, s20, v40
	v_add_f16_e32 v125, v126, v125
	v_fma_f16 v126, v56, s19, v57
	v_mul_f16_e32 v60, 0xbb7b, v60
	v_add_f16_e32 v6, v6, v20
	v_add_f16_e32 v1, v18, v1
	v_fma_f16 v18, v49, s15, -v50
	v_add_f16_e32 v125, v126, v125
	v_fma_f16 v126, v59, s18, v60
	v_mul_f16_e32 v63, 0xb94e, v63
	v_add_f16_e32 v6, v6, v21
	v_add_f16_e32 v4, v4, v18
	v_fma_f16 v18, v53, s17, -v54
	v_add_f16_e32 v125, v126, v125
	v_fma_f16 v126, v62, s16, v63
	v_mul_f16_e32 v66, 0xb3a8, v66
	v_add_f16_e32 v6, v6, v29
	v_add_f16_e32 v4, v18, v4
	v_fma_f16 v18, v56, s19, -v57
	v_add_f16_e32 v125, v126, v125
	v_fma_f16 v126, v65, s13, v66
	v_add_f16_e32 v6, v6, v28
	v_add_f16_e32 v4, v18, v4
	v_fma_f16 v18, v59, s18, -v60
	v_add_f16_e32 v125, v126, v125
	v_add_f16_e32 v5, v5, v26
	;; [unrolled: 1-line block ×4, first 2 shown]
	v_fma_f16 v18, v62, s16, -v63
	v_add_f16_e32 v4, v18, v4
	v_fma_f16 v18, v65, s13, -v66
	v_pack_b32_f16 v5, v5, v6
	v_pack_b32_f16 v6, v125, v124
	v_add_f16_e32 v4, v18, v4
	ds_write2_b32 v16, v5, v6 offset1:100
	v_pack_b32_f16 v5, v118, v111
	v_pack_b32_f16 v6, v104, v97
	v_add_u32_e32 v18, 0x200, v16
	ds_write2_b32 v18, v5, v6 offset0:72 offset1:172
	v_pack_b32_f16 v5, v90, v83
	v_pack_b32_f16 v6, v76, v69
	v_add_u32_e32 v18, 0x400, v16
	ds_write2_b32 v18, v5, v6 offset0:144 offset1:244
	;; [unrolled: 4-line block ×4, first 2 shown]
	v_pack_b32_f16 v5, v14, v13
	v_pack_b32_f16 v6, v17, v15
	v_add_u32_e32 v7, 0xe00, v16
	v_pack_b32_f16 v1, v4, v1
	ds_write2_b32 v7, v5, v6 offset0:104 offset1:204
	ds_write_b32 v16, v1 offset:4800
.LBB0_15:
	s_or_b64 exec, exec, s[4:5]
	s_waitcnt lgkmcnt(0)
	s_barrier
	ds_read_b32 v10, v16
	s_add_u32 s6, s8, 0x1428
	v_lshlrev_b32_e32 v1, 2, v0
	s_addc_u32 s7, s9, 0
	v_sub_u32_e32 v6, 0, v1
	v_cmp_ne_u32_e32 vcc, 0, v0
                                        ; implicit-def: $vgpr9
                                        ; implicit-def: $vgpr7
                                        ; implicit-def: $vgpr8
                                        ; implicit-def: $vgpr4_vgpr5
	s_and_saveexec_b64 s[4:5], vcc
	s_xor_b64 s[4:5], exec, s[4:5]
	s_cbranch_execz .LBB0_17
; %bb.16:
	v_mov_b32_e32 v1, 0
	v_lshlrev_b64 v[4:5], 2, v[0:1]
	v_mov_b32_e32 v7, s7
	v_add_co_u32_e32 v4, vcc, s6, v4
	v_addc_co_u32_e32 v5, vcc, v7, v5, vcc
	global_load_dword v4, v[4:5], off
	ds_read_b32 v5, v6 offset:5200
	s_mov_b32 s8, 0xffff
	s_waitcnt lgkmcnt(0)
	v_pk_add_f16 v7, v10, v5 neg_lo:[0,1] neg_hi:[0,1]
	v_pk_add_f16 v5, v5, v10
	v_bfi_b32 v8, s8, v7, v5
	v_bfi_b32 v5, s8, v5, v7
	v_pk_mul_f16 v7, v8, 0.5 op_sel_hi:[1,0]
	v_pk_mul_f16 v8, v5, 0.5 op_sel_hi:[1,0]
                                        ; implicit-def: $vgpr10
	s_waitcnt vmcnt(0)
	v_pk_mul_f16 v9, v4, v7 op_sel:[1,0]
	v_pk_mul_f16 v4, v4, v7 op_sel_hi:[0,1]
	v_pk_fma_f16 v5, v5, 0.5, v9 op_sel_hi:[1,0,1]
	v_sub_f16_e32 v7, v8, v9
	v_sub_f16_sdwa v8, v9, v8 dst_sel:DWORD dst_unused:UNUSED_PAD src0_sel:WORD_1 src1_sel:WORD_1
	v_pk_add_f16 v9, v5, v4 op_sel:[0,1] op_sel_hi:[1,0]
	v_pk_add_f16 v5, v5, v4 op_sel:[0,1] op_sel_hi:[1,0] neg_lo:[0,1] neg_hi:[0,1]
	v_sub_f16_sdwa v7, v7, v4 dst_sel:DWORD dst_unused:UNUSED_PAD src0_sel:DWORD src1_sel:WORD_1
	v_sub_f16_e32 v8, v8, v4
	v_bfi_b32 v9, s8, v9, v5
	v_mov_b32_e32 v5, v1
	v_mov_b32_e32 v4, v0
.LBB0_17:
	s_andn2_saveexec_b64 s[4:5], s[4:5]
	s_cbranch_execz .LBB0_19
; %bb.18:
	v_mov_b32_e32 v8, 0
	ds_read_u16 v1, v8 offset:2602
	s_waitcnt lgkmcnt(1)
	v_alignbit_b32 v9, s0, v10, 16
	v_mov_b32_e32 v4, 0
	v_pk_add_f16 v9, v9, v10
	v_sub_f16_sdwa v7, v10, v10 dst_sel:DWORD dst_unused:UNUSED_PAD src0_sel:DWORD src1_sel:WORD_1
	v_mov_b32_e32 v5, 0
	s_waitcnt lgkmcnt(0)
	v_xor_b32_e32 v1, 0x8000, v1
	v_pack_b32_f16 v9, v9, 0
	ds_write_b16 v8, v1 offset:2602
.LBB0_19:
	s_or_b64 exec, exec, s[4:5]
	v_lshlrev_b64 v[4:5], 2, v[4:5]
	v_mov_b32_e32 v1, s7
	s_waitcnt lgkmcnt(0)
	v_add_co_u32_e32 v10, vcc, s6, v4
	v_addc_co_u32_e32 v11, vcc, v1, v5, vcc
	global_load_dword v1, v[10:11], off offset:520
	global_load_dword v12, v[10:11], off offset:1040
	;; [unrolled: 1-line block ×3, first 2 shown]
	ds_write_b16 v6, v8 offset:5202
	ds_write_b32 v16, v9
	ds_write_b16 v6, v7 offset:5200
	ds_read_b32 v7, v16 offset:520
	ds_read_b32 v8, v6 offset:4680
	global_load_dword v9, v[10:11], off offset:2080
	s_mov_b32 s4, 0xffff
	s_waitcnt lgkmcnt(0)
	v_pk_add_f16 v10, v7, v8 neg_lo:[0,1] neg_hi:[0,1]
	v_pk_add_f16 v7, v7, v8
	v_bfi_b32 v8, s4, v10, v7
	v_bfi_b32 v7, s4, v7, v10
	v_pk_mul_f16 v8, v8, 0.5 op_sel_hi:[1,0]
	v_pk_mul_f16 v7, v7, 0.5 op_sel_hi:[1,0]
	s_waitcnt vmcnt(3)
	v_pk_fma_f16 v10, v1, v8, v7 op_sel:[1,0,0]
	v_pk_mul_f16 v11, v1, v8 op_sel_hi:[0,1]
	v_pk_fma_f16 v14, v1, v8, v7 op_sel:[1,0,0] neg_lo:[1,0,0] neg_hi:[1,0,0]
	v_pk_fma_f16 v1, v1, v8, v7 op_sel:[1,0,0] neg_lo:[0,0,1] neg_hi:[0,0,1]
	v_pk_add_f16 v7, v10, v11 op_sel:[0,1] op_sel_hi:[1,0]
	v_pk_add_f16 v8, v10, v11 op_sel:[0,1] op_sel_hi:[1,0] neg_lo:[0,1] neg_hi:[0,1]
	v_pk_add_f16 v10, v14, v11 op_sel:[0,1] op_sel_hi:[1,0] neg_lo:[0,1] neg_hi:[0,1]
	v_pk_add_f16 v1, v1, v11 op_sel:[0,1] op_sel_hi:[1,0] neg_lo:[0,1] neg_hi:[0,1]
	v_bfi_b32 v7, s4, v7, v8
	v_bfi_b32 v1, s4, v10, v1
	ds_write_b32 v16, v7 offset:520
	ds_write_b32 v6, v1 offset:4680
	ds_read_b32 v1, v16 offset:1040
	ds_read_b32 v7, v6 offset:4160
	s_waitcnt lgkmcnt(0)
	v_pk_add_f16 v8, v1, v7 neg_lo:[0,1] neg_hi:[0,1]
	v_pk_add_f16 v1, v1, v7
	v_bfi_b32 v7, s4, v8, v1
	v_bfi_b32 v1, s4, v1, v8
	v_pk_mul_f16 v7, v7, 0.5 op_sel_hi:[1,0]
	v_pk_mul_f16 v1, v1, 0.5 op_sel_hi:[1,0]
	s_waitcnt vmcnt(2)
	v_pk_fma_f16 v8, v12, v7, v1 op_sel:[1,0,0]
	v_pk_mul_f16 v10, v12, v7 op_sel_hi:[0,1]
	v_pk_fma_f16 v11, v12, v7, v1 op_sel:[1,0,0] neg_lo:[1,0,0] neg_hi:[1,0,0]
	v_pk_fma_f16 v1, v12, v7, v1 op_sel:[1,0,0] neg_lo:[0,0,1] neg_hi:[0,0,1]
	v_pk_add_f16 v7, v8, v10 op_sel:[0,1] op_sel_hi:[1,0]
	v_pk_add_f16 v8, v8, v10 op_sel:[0,1] op_sel_hi:[1,0] neg_lo:[0,1] neg_hi:[0,1]
	v_pk_add_f16 v11, v11, v10 op_sel:[0,1] op_sel_hi:[1,0] neg_lo:[0,1] neg_hi:[0,1]
	v_pk_add_f16 v1, v1, v10 op_sel:[0,1] op_sel_hi:[1,0] neg_lo:[0,1] neg_hi:[0,1]
	v_bfi_b32 v7, s4, v7, v8
	v_bfi_b32 v1, s4, v11, v1
	ds_write_b32 v16, v7 offset:1040
	ds_write_b32 v6, v1 offset:4160
	ds_read_b32 v1, v16 offset:1560
	ds_read_b32 v7, v6 offset:3640
	;; [unrolled: 22-line block ×3, first 2 shown]
	s_waitcnt lgkmcnt(0)
	v_pk_add_f16 v8, v1, v7 neg_lo:[0,1] neg_hi:[0,1]
	v_pk_add_f16 v1, v1, v7
	v_bfi_b32 v7, s4, v8, v1
	v_bfi_b32 v1, s4, v1, v8
	v_pk_mul_f16 v7, v7, 0.5 op_sel_hi:[1,0]
	v_pk_mul_f16 v1, v1, 0.5 op_sel_hi:[1,0]
	s_waitcnt vmcnt(0)
	v_pk_fma_f16 v8, v9, v7, v1 op_sel:[1,0,0]
	v_pk_mul_f16 v10, v9, v7 op_sel_hi:[0,1]
	v_pk_fma_f16 v11, v9, v7, v1 op_sel:[1,0,0] neg_lo:[1,0,0] neg_hi:[1,0,0]
	v_pk_fma_f16 v1, v9, v7, v1 op_sel:[1,0,0] neg_lo:[0,0,1] neg_hi:[0,0,1]
	v_pk_add_f16 v7, v8, v10 op_sel:[0,1] op_sel_hi:[1,0]
	v_pk_add_f16 v8, v8, v10 op_sel:[0,1] op_sel_hi:[1,0] neg_lo:[0,1] neg_hi:[0,1]
	v_pk_add_f16 v9, v11, v10 op_sel:[0,1] op_sel_hi:[1,0] neg_lo:[0,1] neg_hi:[0,1]
	;; [unrolled: 1-line block ×3, first 2 shown]
	v_bfi_b32 v7, s4, v7, v8
	v_bfi_b32 v1, s4, v9, v1
	ds_write_b32 v16, v7 offset:2080
	ds_write_b32 v6, v1 offset:3120
	s_waitcnt lgkmcnt(0)
	s_barrier
	s_and_saveexec_b64 s[4:5], s[0:1]
	s_cbranch_execz .LBB0_22
; %bb.20:
	ds_read2_b32 v[6:7], v16 offset1:130
	v_mov_b32_e32 v1, s3
	v_add_co_u32_e32 v2, vcc, s2, v2
	v_addc_co_u32_e32 v1, vcc, v1, v3, vcc
	v_add_co_u32_e32 v3, vcc, v2, v4
	v_addc_co_u32_e32 v4, vcc, v1, v5, vcc
	s_waitcnt lgkmcnt(0)
	global_store_dword v[3:4], v6, off
	global_store_dword v[3:4], v7, off offset:520
	v_add_u32_e32 v5, 0x400, v16
	ds_read2_b32 v[5:6], v5 offset0:4 offset1:134
	v_add_u32_e32 v7, 0x800, v16
	ds_read2_b32 v[7:8], v7 offset0:8 offset1:138
	;; [unrolled: 2-line block ×3, first 2 shown]
	s_waitcnt lgkmcnt(2)
	global_store_dword v[3:4], v5, off offset:1040
	global_store_dword v[3:4], v6, off offset:1560
	s_waitcnt lgkmcnt(1)
	global_store_dword v[3:4], v7, off offset:2080
	global_store_dword v[3:4], v8, off offset:2600
	;; [unrolled: 3-line block ×3, first 2 shown]
	v_add_u32_e32 v5, 0x1000, v16
	ds_read2_b32 v[5:6], v5 offset0:16 offset1:146
	v_add_co_u32_e32 v3, vcc, 0x1000, v3
	v_addc_co_u32_e32 v4, vcc, 0, v4, vcc
	s_movk_i32 s0, 0x81
	v_cmp_eq_u32_e32 vcc, s0, v0
	s_waitcnt lgkmcnt(0)
	global_store_dword v[3:4], v5, off offset:64
	global_store_dword v[3:4], v6, off offset:584
	s_and_b64 exec, exec, vcc
	s_cbranch_execz .LBB0_22
; %bb.21:
	v_mov_b32_e32 v0, 0
	ds_read_b32 v3, v0 offset:5200
	v_add_co_u32_e32 v0, vcc, 0x1000, v2
	v_addc_co_u32_e32 v1, vcc, 0, v1, vcc
	s_waitcnt lgkmcnt(0)
	global_store_dword v[0:1], v3, off offset:1104
.LBB0_22:
	s_endpgm
	.section	.rodata,"a",@progbits
	.p2align	6, 0x0
	.amdhsa_kernel fft_rtc_back_len1300_factors_10_10_13_wgs_130_tpt_130_half_ip_CI_unitstride_sbrr_R2C_dirReg
		.amdhsa_group_segment_fixed_size 0
		.amdhsa_private_segment_fixed_size 0
		.amdhsa_kernarg_size 88
		.amdhsa_user_sgpr_count 6
		.amdhsa_user_sgpr_private_segment_buffer 1
		.amdhsa_user_sgpr_dispatch_ptr 0
		.amdhsa_user_sgpr_queue_ptr 0
		.amdhsa_user_sgpr_kernarg_segment_ptr 1
		.amdhsa_user_sgpr_dispatch_id 0
		.amdhsa_user_sgpr_flat_scratch_init 0
		.amdhsa_user_sgpr_private_segment_size 0
		.amdhsa_uses_dynamic_stack 0
		.amdhsa_system_sgpr_private_segment_wavefront_offset 0
		.amdhsa_system_sgpr_workgroup_id_x 1
		.amdhsa_system_sgpr_workgroup_id_y 0
		.amdhsa_system_sgpr_workgroup_id_z 0
		.amdhsa_system_sgpr_workgroup_info 0
		.amdhsa_system_vgpr_workitem_id 0
		.amdhsa_next_free_vgpr 127
		.amdhsa_next_free_sgpr 26
		.amdhsa_reserve_vcc 1
		.amdhsa_reserve_flat_scratch 0
		.amdhsa_float_round_mode_32 0
		.amdhsa_float_round_mode_16_64 0
		.amdhsa_float_denorm_mode_32 3
		.amdhsa_float_denorm_mode_16_64 3
		.amdhsa_dx10_clamp 1
		.amdhsa_ieee_mode 1
		.amdhsa_fp16_overflow 0
		.amdhsa_exception_fp_ieee_invalid_op 0
		.amdhsa_exception_fp_denorm_src 0
		.amdhsa_exception_fp_ieee_div_zero 0
		.amdhsa_exception_fp_ieee_overflow 0
		.amdhsa_exception_fp_ieee_underflow 0
		.amdhsa_exception_fp_ieee_inexact 0
		.amdhsa_exception_int_div_zero 0
	.end_amdhsa_kernel
	.text
.Lfunc_end0:
	.size	fft_rtc_back_len1300_factors_10_10_13_wgs_130_tpt_130_half_ip_CI_unitstride_sbrr_R2C_dirReg, .Lfunc_end0-fft_rtc_back_len1300_factors_10_10_13_wgs_130_tpt_130_half_ip_CI_unitstride_sbrr_R2C_dirReg
                                        ; -- End function
	.section	.AMDGPU.csdata,"",@progbits
; Kernel info:
; codeLenInByte = 8880
; NumSgprs: 30
; NumVgprs: 127
; ScratchSize: 0
; MemoryBound: 0
; FloatMode: 240
; IeeeMode: 1
; LDSByteSize: 0 bytes/workgroup (compile time only)
; SGPRBlocks: 3
; VGPRBlocks: 31
; NumSGPRsForWavesPerEU: 30
; NumVGPRsForWavesPerEU: 127
; Occupancy: 2
; WaveLimiterHint : 1
; COMPUTE_PGM_RSRC2:SCRATCH_EN: 0
; COMPUTE_PGM_RSRC2:USER_SGPR: 6
; COMPUTE_PGM_RSRC2:TRAP_HANDLER: 0
; COMPUTE_PGM_RSRC2:TGID_X_EN: 1
; COMPUTE_PGM_RSRC2:TGID_Y_EN: 0
; COMPUTE_PGM_RSRC2:TGID_Z_EN: 0
; COMPUTE_PGM_RSRC2:TIDIG_COMP_CNT: 0
	.type	__hip_cuid_5533cf96002765b3,@object ; @__hip_cuid_5533cf96002765b3
	.section	.bss,"aw",@nobits
	.globl	__hip_cuid_5533cf96002765b3
__hip_cuid_5533cf96002765b3:
	.byte	0                               ; 0x0
	.size	__hip_cuid_5533cf96002765b3, 1

	.ident	"AMD clang version 19.0.0git (https://github.com/RadeonOpenCompute/llvm-project roc-6.4.0 25133 c7fe45cf4b819c5991fe208aaa96edf142730f1d)"
	.section	".note.GNU-stack","",@progbits
	.addrsig
	.addrsig_sym __hip_cuid_5533cf96002765b3
	.amdgpu_metadata
---
amdhsa.kernels:
  - .args:
      - .actual_access:  read_only
        .address_space:  global
        .offset:         0
        .size:           8
        .value_kind:     global_buffer
      - .offset:         8
        .size:           8
        .value_kind:     by_value
      - .actual_access:  read_only
        .address_space:  global
        .offset:         16
        .size:           8
        .value_kind:     global_buffer
      - .actual_access:  read_only
        .address_space:  global
        .offset:         24
        .size:           8
        .value_kind:     global_buffer
      - .offset:         32
        .size:           8
        .value_kind:     by_value
      - .actual_access:  read_only
        .address_space:  global
        .offset:         40
        .size:           8
        .value_kind:     global_buffer
      - .actual_access:  read_only
        .address_space:  global
        .offset:         48
        .size:           8
        .value_kind:     global_buffer
      - .offset:         56
        .size:           4
        .value_kind:     by_value
      - .actual_access:  read_only
        .address_space:  global
        .offset:         64
        .size:           8
        .value_kind:     global_buffer
      - .actual_access:  read_only
        .address_space:  global
        .offset:         72
        .size:           8
        .value_kind:     global_buffer
      - .address_space:  global
        .offset:         80
        .size:           8
        .value_kind:     global_buffer
    .group_segment_fixed_size: 0
    .kernarg_segment_align: 8
    .kernarg_segment_size: 88
    .language:       OpenCL C
    .language_version:
      - 2
      - 0
    .max_flat_workgroup_size: 130
    .name:           fft_rtc_back_len1300_factors_10_10_13_wgs_130_tpt_130_half_ip_CI_unitstride_sbrr_R2C_dirReg
    .private_segment_fixed_size: 0
    .sgpr_count:     30
    .sgpr_spill_count: 0
    .symbol:         fft_rtc_back_len1300_factors_10_10_13_wgs_130_tpt_130_half_ip_CI_unitstride_sbrr_R2C_dirReg.kd
    .uniform_work_group_size: 1
    .uses_dynamic_stack: false
    .vgpr_count:     127
    .vgpr_spill_count: 0
    .wavefront_size: 64
amdhsa.target:   amdgcn-amd-amdhsa--gfx906
amdhsa.version:
  - 1
  - 2
...

	.end_amdgpu_metadata
